;; amdgpu-corpus repo=ROCm/rocFFT kind=compiled arch=gfx906 opt=O3
	.text
	.amdgcn_target "amdgcn-amd-amdhsa--gfx906"
	.amdhsa_code_object_version 6
	.protected	fft_rtc_fwd_len44_factors_11_4_wgs_64_tpt_4_halfLds_dp_op_CI_CI_sbrr_dirReg ; -- Begin function fft_rtc_fwd_len44_factors_11_4_wgs_64_tpt_4_halfLds_dp_op_CI_CI_sbrr_dirReg
	.globl	fft_rtc_fwd_len44_factors_11_4_wgs_64_tpt_4_halfLds_dp_op_CI_CI_sbrr_dirReg
	.p2align	8
	.type	fft_rtc_fwd_len44_factors_11_4_wgs_64_tpt_4_halfLds_dp_op_CI_CI_sbrr_dirReg,@function
fft_rtc_fwd_len44_factors_11_4_wgs_64_tpt_4_halfLds_dp_op_CI_CI_sbrr_dirReg: ; @fft_rtc_fwd_len44_factors_11_4_wgs_64_tpt_4_halfLds_dp_op_CI_CI_sbrr_dirReg
; %bb.0:
	s_load_dwordx4 s[16:19], s[4:5], 0x18
	s_load_dwordx4 s[8:11], s[4:5], 0x0
	;; [unrolled: 1-line block ×3, first 2 shown]
	v_lshrrev_b32_e32 v40, 2, v0
	v_mov_b32_e32 v3, 0
	s_waitcnt lgkmcnt(0)
	s_load_dwordx2 s[2:3], s[16:17], 0x0
	s_load_dwordx2 s[20:21], s[18:19], 0x0
	v_cmp_lt_u64_e64 s[0:1], s[10:11], 2
	v_mov_b32_e32 v1, 0
	v_lshl_or_b32 v5, s6, 4, v40
	v_mov_b32_e32 v6, v3
	s_and_b64 vcc, exec, s[0:1]
	v_mov_b32_e32 v2, 0
	s_cbranch_vccnz .LBB0_8
; %bb.1:
	s_load_dwordx2 s[0:1], s[4:5], 0x10
	s_add_u32 s6, s18, 8
	s_addc_u32 s7, s19, 0
	s_add_u32 s22, s16, 8
	v_mov_b32_e32 v1, 0
	s_addc_u32 s23, s17, 0
	v_mov_b32_e32 v2, 0
	s_waitcnt lgkmcnt(0)
	s_add_u32 s24, s0, 8
	v_mov_b32_e32 v61, v2
	s_addc_u32 s25, s1, 0
	s_mov_b64 s[26:27], 1
	v_mov_b32_e32 v60, v1
.LBB0_2:                                ; =>This Inner Loop Header: Depth=1
	s_load_dwordx2 s[28:29], s[24:25], 0x0
                                        ; implicit-def: $vgpr62_vgpr63
	s_waitcnt lgkmcnt(0)
	v_or_b32_e32 v4, s29, v6
	v_cmp_ne_u64_e32 vcc, 0, v[3:4]
	s_and_saveexec_b64 s[0:1], vcc
	s_xor_b64 s[30:31], exec, s[0:1]
	s_cbranch_execz .LBB0_4
; %bb.3:                                ;   in Loop: Header=BB0_2 Depth=1
	v_cvt_f32_u32_e32 v4, s28
	v_cvt_f32_u32_e32 v7, s29
	s_sub_u32 s0, 0, s28
	s_subb_u32 s1, 0, s29
	v_mac_f32_e32 v4, 0x4f800000, v7
	v_rcp_f32_e32 v4, v4
	v_mul_f32_e32 v4, 0x5f7ffffc, v4
	v_mul_f32_e32 v7, 0x2f800000, v4
	v_trunc_f32_e32 v7, v7
	v_mac_f32_e32 v4, 0xcf800000, v7
	v_cvt_u32_f32_e32 v7, v7
	v_cvt_u32_f32_e32 v4, v4
	v_mul_lo_u32 v8, s0, v7
	v_mul_hi_u32 v9, s0, v4
	v_mul_lo_u32 v11, s1, v4
	v_mul_lo_u32 v10, s0, v4
	v_add_u32_e32 v8, v9, v8
	v_add_u32_e32 v8, v8, v11
	v_mul_hi_u32 v9, v4, v10
	v_mul_lo_u32 v11, v4, v8
	v_mul_hi_u32 v13, v4, v8
	v_mul_hi_u32 v12, v7, v10
	v_mul_lo_u32 v10, v7, v10
	v_mul_hi_u32 v14, v7, v8
	v_add_co_u32_e32 v9, vcc, v9, v11
	v_addc_co_u32_e32 v11, vcc, 0, v13, vcc
	v_mul_lo_u32 v8, v7, v8
	v_add_co_u32_e32 v9, vcc, v9, v10
	v_addc_co_u32_e32 v9, vcc, v11, v12, vcc
	v_addc_co_u32_e32 v10, vcc, 0, v14, vcc
	v_add_co_u32_e32 v8, vcc, v9, v8
	v_addc_co_u32_e32 v9, vcc, 0, v10, vcc
	v_add_co_u32_e32 v4, vcc, v4, v8
	v_addc_co_u32_e32 v7, vcc, v7, v9, vcc
	v_mul_lo_u32 v8, s0, v7
	v_mul_hi_u32 v9, s0, v4
	v_mul_lo_u32 v10, s1, v4
	v_mul_lo_u32 v11, s0, v4
	v_add_u32_e32 v8, v9, v8
	v_add_u32_e32 v8, v8, v10
	v_mul_lo_u32 v12, v4, v8
	v_mul_hi_u32 v13, v4, v11
	v_mul_hi_u32 v14, v4, v8
	;; [unrolled: 1-line block ×3, first 2 shown]
	v_mul_lo_u32 v11, v7, v11
	v_mul_hi_u32 v9, v7, v8
	v_add_co_u32_e32 v12, vcc, v13, v12
	v_addc_co_u32_e32 v13, vcc, 0, v14, vcc
	v_mul_lo_u32 v8, v7, v8
	v_add_co_u32_e32 v11, vcc, v12, v11
	v_addc_co_u32_e32 v10, vcc, v13, v10, vcc
	v_addc_co_u32_e32 v9, vcc, 0, v9, vcc
	v_add_co_u32_e32 v8, vcc, v10, v8
	v_addc_co_u32_e32 v9, vcc, 0, v9, vcc
	v_add_co_u32_e32 v4, vcc, v4, v8
	v_addc_co_u32_e32 v9, vcc, v7, v9, vcc
	v_mad_u64_u32 v[7:8], s[0:1], v5, v9, 0
	v_mul_hi_u32 v10, v5, v4
	v_add_co_u32_e32 v11, vcc, v10, v7
	v_addc_co_u32_e32 v12, vcc, 0, v8, vcc
	v_mad_u64_u32 v[7:8], s[0:1], v6, v4, 0
	v_mad_u64_u32 v[9:10], s[0:1], v6, v9, 0
	v_add_co_u32_e32 v4, vcc, v11, v7
	v_addc_co_u32_e32 v4, vcc, v12, v8, vcc
	v_addc_co_u32_e32 v7, vcc, 0, v10, vcc
	v_add_co_u32_e32 v4, vcc, v4, v9
	v_addc_co_u32_e32 v9, vcc, 0, v7, vcc
	v_mul_lo_u32 v10, s29, v4
	v_mul_lo_u32 v11, s28, v9
	v_mad_u64_u32 v[7:8], s[0:1], s28, v4, 0
	v_add3_u32 v8, v8, v11, v10
	v_sub_u32_e32 v10, v6, v8
	v_mov_b32_e32 v11, s29
	v_sub_co_u32_e32 v7, vcc, v5, v7
	v_subb_co_u32_e64 v10, s[0:1], v10, v11, vcc
	v_subrev_co_u32_e64 v11, s[0:1], s28, v7
	v_subbrev_co_u32_e64 v10, s[0:1], 0, v10, s[0:1]
	v_cmp_le_u32_e64 s[0:1], s29, v10
	v_cndmask_b32_e64 v12, 0, -1, s[0:1]
	v_cmp_le_u32_e64 s[0:1], s28, v11
	v_cndmask_b32_e64 v11, 0, -1, s[0:1]
	v_cmp_eq_u32_e64 s[0:1], s29, v10
	v_cndmask_b32_e64 v10, v12, v11, s[0:1]
	v_add_co_u32_e64 v11, s[0:1], 2, v4
	v_addc_co_u32_e64 v12, s[0:1], 0, v9, s[0:1]
	v_add_co_u32_e64 v13, s[0:1], 1, v4
	v_addc_co_u32_e64 v14, s[0:1], 0, v9, s[0:1]
	v_subb_co_u32_e32 v8, vcc, v6, v8, vcc
	v_cmp_ne_u32_e64 s[0:1], 0, v10
	v_cmp_le_u32_e32 vcc, s29, v8
	v_cndmask_b32_e64 v10, v14, v12, s[0:1]
	v_cndmask_b32_e64 v12, 0, -1, vcc
	v_cmp_le_u32_e32 vcc, s28, v7
	v_cndmask_b32_e64 v7, 0, -1, vcc
	v_cmp_eq_u32_e32 vcc, s29, v8
	v_cndmask_b32_e32 v7, v12, v7, vcc
	v_cmp_ne_u32_e32 vcc, 0, v7
	v_cndmask_b32_e64 v7, v13, v11, s[0:1]
	v_cndmask_b32_e32 v63, v9, v10, vcc
	v_cndmask_b32_e32 v62, v4, v7, vcc
.LBB0_4:                                ;   in Loop: Header=BB0_2 Depth=1
	s_andn2_saveexec_b64 s[0:1], s[30:31]
	s_cbranch_execz .LBB0_6
; %bb.5:                                ;   in Loop: Header=BB0_2 Depth=1
	v_cvt_f32_u32_e32 v4, s28
	s_sub_i32 s30, 0, s28
	v_mov_b32_e32 v63, v3
	v_rcp_iflag_f32_e32 v4, v4
	v_mul_f32_e32 v4, 0x4f7ffffe, v4
	v_cvt_u32_f32_e32 v4, v4
	v_mul_lo_u32 v7, s30, v4
	v_mul_hi_u32 v7, v4, v7
	v_add_u32_e32 v4, v4, v7
	v_mul_hi_u32 v4, v5, v4
	v_mul_lo_u32 v7, v4, s28
	v_add_u32_e32 v8, 1, v4
	v_sub_u32_e32 v7, v5, v7
	v_subrev_u32_e32 v9, s28, v7
	v_cmp_le_u32_e32 vcc, s28, v7
	v_cndmask_b32_e32 v7, v7, v9, vcc
	v_cndmask_b32_e32 v4, v4, v8, vcc
	v_add_u32_e32 v8, 1, v4
	v_cmp_le_u32_e32 vcc, s28, v7
	v_cndmask_b32_e32 v62, v4, v8, vcc
.LBB0_6:                                ;   in Loop: Header=BB0_2 Depth=1
	s_or_b64 exec, exec, s[0:1]
	v_mul_lo_u32 v4, v63, s28
	v_mul_lo_u32 v9, v62, s29
	v_mad_u64_u32 v[7:8], s[0:1], v62, s28, 0
	s_load_dwordx2 s[0:1], s[22:23], 0x0
	s_load_dwordx2 s[28:29], s[6:7], 0x0
	v_add3_u32 v4, v8, v9, v4
	v_sub_co_u32_e32 v5, vcc, v5, v7
	v_subb_co_u32_e32 v4, vcc, v6, v4, vcc
	s_waitcnt lgkmcnt(0)
	v_mul_lo_u32 v6, s0, v4
	v_mul_lo_u32 v7, s1, v5
	v_mad_u64_u32 v[1:2], s[0:1], s0, v5, v[1:2]
	v_mul_lo_u32 v4, s28, v4
	v_mul_lo_u32 v8, s29, v5
	v_mad_u64_u32 v[60:61], s[0:1], s28, v5, v[60:61]
	s_add_u32 s26, s26, 1
	s_addc_u32 s27, s27, 0
	s_add_u32 s6, s6, 8
	v_add3_u32 v61, v8, v61, v4
	s_addc_u32 s7, s7, 0
	v_mov_b32_e32 v4, s10
	s_add_u32 s22, s22, 8
	v_mov_b32_e32 v5, s11
	s_addc_u32 s23, s23, 0
	v_cmp_ge_u64_e32 vcc, s[26:27], v[4:5]
	s_add_u32 s24, s24, 8
	v_add3_u32 v2, v7, v2, v6
	s_addc_u32 s25, s25, 0
	s_cbranch_vccnz .LBB0_9
; %bb.7:                                ;   in Loop: Header=BB0_2 Depth=1
	v_mov_b32_e32 v5, v62
	v_mov_b32_e32 v6, v63
	s_branch .LBB0_2
.LBB0_8:
	v_mov_b32_e32 v61, v2
	v_mov_b32_e32 v63, v6
	;; [unrolled: 1-line block ×4, first 2 shown]
.LBB0_9:
	s_load_dwordx2 s[0:1], s[4:5], 0x28
	s_lshl_b64 s[10:11], s[10:11], 3
	s_add_u32 s4, s18, s10
	s_addc_u32 s5, s19, s11
	v_and_b32_e32 v70, 3, v0
	s_waitcnt lgkmcnt(0)
	v_cmp_gt_u64_e32 vcc, s[0:1], v[62:63]
	v_cmp_le_u64_e64 s[0:1], s[0:1], v[62:63]
                                        ; implicit-def: $vgpr72
                                        ; implicit-def: $vgpr71
	s_and_saveexec_b64 s[6:7], s[0:1]
	s_xor_b64 s[0:1], exec, s[6:7]
; %bb.10:
	v_and_b32_e32 v70, 3, v0
	v_or_b32_e32 v72, 4, v70
	v_or_b32_e32 v71, 8, v70
                                        ; implicit-def: $vgpr1_vgpr2
; %bb.11:
	s_or_saveexec_b64 s[6:7], s[0:1]
                                        ; implicit-def: $vgpr58_vgpr59
                                        ; implicit-def: $vgpr54_vgpr55
                                        ; implicit-def: $vgpr6_vgpr7
                                        ; implicit-def: $vgpr10_vgpr11
                                        ; implicit-def: $vgpr26_vgpr27
                                        ; implicit-def: $vgpr22_vgpr23
                                        ; implicit-def: $vgpr34_vgpr35
                                        ; implicit-def: $vgpr18_vgpr19
                                        ; implicit-def: $vgpr14_vgpr15
                                        ; implicit-def: $vgpr38_vgpr39
                                        ; implicit-def: $vgpr30_vgpr31
	s_xor_b64 exec, exec, s[6:7]
	s_cbranch_execz .LBB0_13
; %bb.12:
	s_add_u32 s0, s16, s10
	s_addc_u32 s1, s17, s11
	s_load_dwordx2 s[0:1], s[0:1], 0x0
	v_mad_u64_u32 v[3:4], s[10:11], s2, v70, 0
	v_or_b32_e32 v72, 4, v70
	v_or_b32_e32 v71, 8, v70
	s_waitcnt lgkmcnt(0)
	v_mul_lo_u32 v9, s1, v62
	v_mul_lo_u32 v10, s0, v63
	v_mad_u64_u32 v[5:6], s[0:1], s0, v62, 0
	v_mov_b32_e32 v0, v4
	v_mad_u64_u32 v[7:8], s[0:1], s3, v70, v[0:1]
	v_add3_u32 v6, v6, v10, v9
	v_lshlrev_b64 v[5:6], 4, v[5:6]
	v_mov_b32_e32 v4, v7
	v_mov_b32_e32 v0, s13
	v_add_co_u32_e64 v7, s[0:1], s12, v5
	v_addc_co_u32_e64 v8, s[0:1], v0, v6, s[0:1]
	v_mad_u64_u32 v[5:6], s[0:1], s2, v72, 0
	v_lshlrev_b64 v[0:1], 4, v[1:2]
	v_or_b32_e32 v10, 12, v70
	v_add_co_u32_e64 v12, s[0:1], v7, v0
	v_mov_b32_e32 v2, v6
	v_addc_co_u32_e64 v13, s[0:1], v8, v1, s[0:1]
	v_lshlrev_b64 v[0:1], 4, v[3:4]
	v_mad_u64_u32 v[2:3], s[0:1], s3, v72, v[2:3]
	v_mad_u64_u32 v[3:4], s[0:1], s2, v71, 0
	v_add_co_u32_e64 v0, s[0:1], v12, v0
	v_mov_b32_e32 v6, v2
	v_mov_b32_e32 v2, v4
	v_addc_co_u32_e64 v1, s[0:1], v13, v1, s[0:1]
	v_mad_u64_u32 v[7:8], s[0:1], s3, v71, v[2:3]
	v_mad_u64_u32 v[8:9], s[0:1], s2, v10, 0
	v_lshlrev_b64 v[5:6], 4, v[5:6]
	v_mov_b32_e32 v4, v7
	v_add_co_u32_e64 v41, s[0:1], v12, v5
	v_lshlrev_b64 v[2:3], 4, v[3:4]
	v_mov_b32_e32 v4, v9
	v_addc_co_u32_e64 v42, s[0:1], v13, v6, s[0:1]
	v_mad_u64_u32 v[4:5], s[0:1], s3, v10, v[4:5]
	v_or_b32_e32 v10, 16, v70
	v_mad_u64_u32 v[5:6], s[0:1], s2, v10, 0
	v_add_co_u32_e64 v2, s[0:1], v12, v2
	v_mov_b32_e32 v9, v4
	v_mov_b32_e32 v4, v6
	v_addc_co_u32_e64 v3, s[0:1], v13, v3, s[0:1]
	v_lshlrev_b64 v[7:8], 4, v[8:9]
	v_mad_u64_u32 v[9:10], s[0:1], s3, v10, v[4:5]
	v_or_b32_e32 v14, 20, v70
	v_mad_u64_u32 v[10:11], s[0:1], s2, v14, 0
	v_mov_b32_e32 v6, v9
	v_add_co_u32_e64 v43, s[0:1], v12, v7
	v_lshlrev_b64 v[4:5], 4, v[5:6]
	v_mov_b32_e32 v6, v11
	v_addc_co_u32_e64 v44, s[0:1], v13, v8, s[0:1]
	v_mad_u64_u32 v[6:7], s[0:1], s3, v14, v[6:7]
	v_or_b32_e32 v9, 24, v70
	v_mad_u64_u32 v[7:8], s[0:1], s2, v9, 0
	v_add_co_u32_e64 v45, s[0:1], v12, v4
	v_mov_b32_e32 v11, v6
	v_mov_b32_e32 v6, v8
	v_addc_co_u32_e64 v46, s[0:1], v13, v5, s[0:1]
	v_lshlrev_b64 v[4:5], 4, v[10:11]
	v_mad_u64_u32 v[8:9], s[0:1], s3, v9, v[6:7]
	v_or_b32_e32 v11, 28, v70
	v_mad_u64_u32 v[9:10], s[0:1], s2, v11, 0
	v_add_co_u32_e64 v47, s[0:1], v12, v4
	v_mov_b32_e32 v6, v10
	v_addc_co_u32_e64 v48, s[0:1], v13, v5, s[0:1]
	v_lshlrev_b64 v[4:5], 4, v[7:8]
	v_mad_u64_u32 v[6:7], s[0:1], s3, v11, v[6:7]
	v_or_b32_e32 v11, 32, v70
	v_mad_u64_u32 v[7:8], s[0:1], s2, v11, 0
	v_add_co_u32_e64 v49, s[0:1], v12, v4
	v_mov_b32_e32 v10, v6
	v_mov_b32_e32 v6, v8
	v_addc_co_u32_e64 v50, s[0:1], v13, v5, s[0:1]
	v_lshlrev_b64 v[4:5], 4, v[9:10]
	v_mad_u64_u32 v[8:9], s[0:1], s3, v11, v[6:7]
	v_or_b32_e32 v11, 36, v70
	v_mad_u64_u32 v[9:10], s[0:1], s2, v11, 0
	v_add_co_u32_e64 v64, s[0:1], v12, v4
	v_mov_b32_e32 v6, v10
	v_addc_co_u32_e64 v65, s[0:1], v13, v5, s[0:1]
	v_lshlrev_b64 v[4:5], 4, v[7:8]
	v_mad_u64_u32 v[6:7], s[0:1], s3, v11, v[6:7]
	v_or_b32_e32 v11, 40, v70
	v_mad_u64_u32 v[7:8], s[0:1], s2, v11, 0
	v_add_co_u32_e64 v66, s[0:1], v12, v4
	v_mov_b32_e32 v10, v6
	v_mov_b32_e32 v6, v8
	v_addc_co_u32_e64 v67, s[0:1], v13, v5, s[0:1]
	v_lshlrev_b64 v[4:5], 4, v[9:10]
	v_mad_u64_u32 v[8:9], s[0:1], s3, v11, v[6:7]
	v_add_co_u32_e64 v68, s[0:1], v12, v4
	v_addc_co_u32_e64 v69, s[0:1], v13, v5, s[0:1]
	v_lshlrev_b64 v[4:5], 4, v[7:8]
	v_add_co_u32_e64 v73, s[0:1], v12, v4
	v_addc_co_u32_e64 v74, s[0:1], v13, v5, s[0:1]
	global_load_dwordx4 v[28:31], v[0:1], off
	global_load_dwordx4 v[56:59], v[41:42], off
	;; [unrolled: 1-line block ×11, first 2 shown]
.LBB0_13:
	s_or_b64 exec, exec, s[6:7]
	s_waitcnt vmcnt(9)
	v_add_f64 v[0:1], v[56:57], v[28:29]
	s_waitcnt vmcnt(0)
	v_add_f64 v[2:3], v[56:57], v[20:21]
	s_mov_b32 s6, 0x8764f0ba
	s_mov_b32 s7, 0x3feaeb8c
	v_mul_u32_u24_e32 v64, 44, v40
	v_add_f64 v[40:41], v[58:59], -v[22:23]
	v_add_f64 v[42:43], v[52:53], v[24:25]
	s_mov_b32 s24, 0xf8bb580b
	v_add_f64 v[0:1], v[52:53], v[0:1]
	v_mul_f64 v[46:47], v[2:3], s[6:7]
	s_mov_b32 s10, 0xd9c712b6
	s_mov_b32 s12, 0x640f44db
	;; [unrolled: 1-line block ×6, first 2 shown]
	v_add_f64 v[0:1], v[36:37], v[0:1]
	s_mov_b32 s11, 0x3fda9628
	s_mov_b32 s13, 0xbfc2375f
	;; [unrolled: 1-line block ×5, first 2 shown]
	v_add_f64 v[44:45], v[54:55], -v[26:27]
	v_mul_f64 v[48:49], v[2:3], s[10:11]
	v_add_f64 v[0:1], v[12:13], v[0:1]
	v_mul_f64 v[50:51], v[2:3], s[12:13]
	v_mul_f64 v[65:66], v[2:3], s[16:17]
	;; [unrolled: 1-line block ×4, first 2 shown]
	v_fma_f64 v[75:76], v[40:41], s[24:25], v[46:47]
	v_fma_f64 v[46:47], v[40:41], s[30:31], v[46:47]
	s_mov_b32 s18, 0x8eee2c13
	v_add_f64 v[0:1], v[4:5], v[0:1]
	s_mov_b32 s36, 0x43842ef
	s_mov_b32 s0, 0xbb3a28a1
	;; [unrolled: 1-line block ×7, first 2 shown]
	v_add_f64 v[0:1], v[8:9], v[0:1]
	s_mov_b32 s1, 0x3fe82f19
	s_mov_b32 s29, 0xbfe82f19
	;; [unrolled: 1-line block ×7, first 2 shown]
	v_add_f64 v[0:1], v[16:17], v[0:1]
	s_mov_b32 s34, s40
	v_mul_f64 v[73:74], v[42:43], s[16:17]
	v_fma_f64 v[77:78], v[40:41], s[18:19], v[48:49]
	v_fma_f64 v[48:49], v[40:41], s[38:39], v[48:49]
	;; [unrolled: 1-line block ×5, first 2 shown]
	v_add_f64 v[0:1], v[32:33], v[0:1]
	v_fma_f64 v[65:66], v[40:41], s[28:29], v[65:66]
	v_fma_f64 v[83:84], v[40:41], s[40:41], v[2:3]
	;; [unrolled: 1-line block ×5, first 2 shown]
	v_add_f64 v[75:76], v[75:76], v[28:29]
	v_add_f64 v[46:47], v[46:47], v[28:29]
	;; [unrolled: 1-line block ×9, first 2 shown]
	v_fma_f64 v[87:88], v[44:45], s[0:1], v[73:74]
	v_add_f64 v[85:86], v[20:21], v[0:1]
	v_add_f64 v[0:1], v[83:84], v[28:29]
	v_mul_f64 v[83:84], v[42:43], s[26:27]
	v_add_f64 v[2:3], v[2:3], v[28:29]
	v_add_f64 v[28:29], v[40:41], v[75:76]
	v_fma_f64 v[40:41], v[44:45], s[28:29], v[73:74]
	v_mul_f64 v[73:74], v[42:43], s[12:13]
	v_add_f64 v[46:47], v[67:68], v[46:47]
	v_add_f64 v[67:68], v[32:33], v[36:37]
	;; [unrolled: 1-line block ×3, first 2 shown]
	v_fma_f64 v[75:76], v[44:45], s[34:35], v[83:84]
	v_mul_f64 v[42:43], v[42:43], s[6:7]
	v_fma_f64 v[83:84], v[44:45], s[40:41], v[83:84]
	v_add_f64 v[40:41], v[40:41], v[48:49]
	v_fma_f64 v[48:49], v[44:45], s[22:23], v[73:74]
	v_add_f64 v[87:88], v[38:39], -v[34:35]
	v_mul_f64 v[89:90], v[67:68], s[12:13]
	v_fma_f64 v[73:74], v[44:45], s[36:37], v[73:74]
	v_add_f64 v[75:76], v[75:76], v[79:80]
	v_fma_f64 v[79:80], v[44:45], s[30:31], v[42:43]
	v_add_f64 v[50:51], v[83:84], v[50:51]
	v_mul_f64 v[83:84], v[67:68], s[26:27]
	v_add_f64 v[48:49], v[48:49], v[81:82]
	v_fma_f64 v[42:43], v[44:45], s[24:25], v[42:43]
	v_fma_f64 v[44:45], v[87:88], s[36:37], v[89:90]
	;; [unrolled: 1-line block ×3, first 2 shown]
	v_add_f64 v[65:66], v[73:74], v[65:66]
	v_mul_f64 v[73:74], v[67:68], s[10:11]
	v_add_f64 v[0:1], v[79:80], v[0:1]
	v_fma_f64 v[79:80], v[87:88], s[34:35], v[83:84]
	v_fma_f64 v[83:84], v[87:88], s[40:41], v[83:84]
	v_add_f64 v[2:3], v[42:43], v[2:3]
	v_add_f64 v[28:29], v[44:45], v[28:29]
	;; [unrolled: 1-line block ×4, first 2 shown]
	v_fma_f64 v[81:82], v[87:88], s[38:39], v[73:74]
	v_mul_f64 v[46:47], v[67:68], s[6:7]
	v_add_f64 v[77:78], v[79:80], v[77:78]
	v_add_f64 v[40:41], v[83:84], v[40:41]
	v_mul_f64 v[67:68], v[67:68], s[16:17]
	v_fma_f64 v[73:74], v[87:88], s[18:19], v[73:74]
	v_add_f64 v[79:80], v[14:15], -v[18:19]
	v_mul_f64 v[83:84], v[44:45], s[16:17]
	v_add_f64 v[75:76], v[81:82], v[75:76]
	v_mul_f64 v[81:82], v[44:45], s[12:13]
	v_fma_f64 v[89:90], v[87:88], s[24:25], v[46:47]
	v_fma_f64 v[46:47], v[87:88], s[30:31], v[46:47]
	;; [unrolled: 1-line block ×3, first 2 shown]
	v_add_f64 v[50:51], v[73:74], v[50:51]
	v_fma_f64 v[67:68], v[87:88], s[28:29], v[67:68]
	v_fma_f64 v[73:74], v[79:80], s[0:1], v[83:84]
	;; [unrolled: 1-line block ×5, first 2 shown]
	v_add_f64 v[46:47], v[46:47], v[65:66]
	v_mul_f64 v[65:66], v[44:45], s[6:7]
	v_add_f64 v[48:49], v[89:90], v[48:49]
	v_add_f64 v[2:3], v[67:68], v[2:3]
	;; [unrolled: 1-line block ×3, first 2 shown]
	v_mul_f64 v[67:68], v[44:45], s[26:27]
	v_add_f64 v[73:74], v[87:88], v[77:78]
	v_add_f64 v[77:78], v[4:5], v[8:9]
	v_mul_f64 v[44:45], v[44:45], s[10:11]
	v_add_f64 v[0:1], v[91:92], v[0:1]
	v_add_f64 v[42:43], v[83:84], v[42:43]
	v_fma_f64 v[83:84], v[79:80], s[24:25], v[65:66]
	v_fma_f64 v[65:66], v[79:80], s[30:31], v[65:66]
	v_fma_f64 v[87:88], v[79:80], s[40:41], v[67:68]
	v_fma_f64 v[67:68], v[79:80], s[34:35], v[67:68]
	v_add_f64 v[89:90], v[6:7], -v[10:11]
	v_mul_f64 v[91:92], v[77:78], s[26:27]
	v_add_f64 v[40:41], v[81:82], v[40:41]
	v_fma_f64 v[81:82], v[79:80], s[38:39], v[44:45]
	v_fma_f64 v[44:45], v[79:80], s[18:19], v[44:45]
	v_add_f64 v[50:51], v[65:66], v[50:51]
	v_mul_f64 v[79:80], v[77:78], s[6:7]
	v_add_f64 v[46:47], v[67:68], v[46:47]
	v_add_f64 v[75:76], v[83:84], v[75:76]
	v_fma_f64 v[65:66], v[89:90], s[40:41], v[91:92]
	v_fma_f64 v[67:68], v[89:90], s[34:35], v[91:92]
	v_add_f64 v[81:82], v[81:82], v[0:1]
	v_mul_f64 v[0:1], v[77:78], s[16:17]
	v_mul_f64 v[83:84], v[77:78], s[10:11]
	;; [unrolled: 1-line block ×3, first 2 shown]
	v_add_f64 v[44:45], v[44:45], v[2:3]
	v_add_f64 v[48:49], v[87:88], v[48:49]
	;; [unrolled: 1-line block ×4, first 2 shown]
	v_fma_f64 v[28:29], v[89:90], s[30:31], v[79:80]
	v_fma_f64 v[42:43], v[89:90], s[24:25], v[79:80]
	;; [unrolled: 1-line block ×8, first 2 shown]
	v_add_f64 v[91:92], v[28:29], v[73:74]
	v_add_f64 v[0:1], v[42:43], v[40:41]
	;; [unrolled: 1-line block ×8, first 2 shown]
	v_lshl_add_u32 v67, v64, 3, 0
	s_movk_i32 s0, 0x58
	v_mad_u32_u24 v73, v70, s0, v67
	s_movk_i32 s0, 0xffb0
	v_mad_i32_i24 v74, v70, s0, v73
	s_load_dwordx2 s[4:5], s[4:5], 0x0
	ds_write2_b64 v73, v[85:86], v[65:66] offset1:1
	ds_write2_b64 v73, v[91:92], v[40:41] offset0:2 offset1:3
	ds_write2_b64 v73, v[42:43], v[48:49] offset0:4 offset1:5
	;; [unrolled: 1-line block ×4, first 2 shown]
	ds_write_b64 v73, v[2:3] offset:80
	s_waitcnt lgkmcnt(0)
	; wave barrier
	s_waitcnt lgkmcnt(0)
	v_lshl_add_u32 v75, v70, 3, v67
	ds_read2_b64 v[48:51], v74 offset0:11 offset1:15
	ds_read2_b64 v[40:43], v74 offset0:22 offset1:26
	ds_read2_b64 v[44:47], v74 offset0:33 offset1:37
	v_lshl_add_u32 v78, v72, 3, v67
	ds_read_b64 v[68:69], v75
	ds_read_b64 v[66:67], v78
	v_cmp_eq_u32_e64 s[0:1], 3, v70
	v_cmp_ne_u32_e64 s[2:3], 3, v70
	v_lshlrev_b32_e32 v76, 3, v71
	v_lshlrev_b32_e32 v77, 3, v64
                                        ; implicit-def: $vgpr64_vgpr65
	s_and_saveexec_b64 s[42:43], s[2:3]
	s_cbranch_execz .LBB0_15
; %bb.14:
	v_add3_u32 v28, 0, v76, v77
	ds_read2_b64 v[0:3], v74 offset0:19 offset1:30
	ds_read_b64 v[28:29], v28
	ds_read_b64 v[64:65], v74 offset:328
.LBB0_15:
	s_or_b64 exec, exec, s[42:43]
	v_add_f64 v[79:80], v[58:59], v[30:31]
	v_add_f64 v[32:33], v[36:37], -v[32:33]
	v_add_f64 v[20:21], v[56:57], -v[20:21]
	v_add_f64 v[56:57], v[58:59], v[22:23]
	v_add_f64 v[58:59], v[54:55], v[26:27]
	v_add_f64 v[24:25], v[52:53], -v[24:25]
	v_add_f64 v[52:53], v[34:35], v[38:39]
	v_add_f64 v[12:13], v[12:13], -v[16:17]
	v_add_f64 v[36:37], v[54:55], v[79:80]
	v_mul_f64 v[91:92], v[32:33], s[22:23]
	v_mul_f64 v[54:55], v[20:21], s[30:31]
	;; [unrolled: 1-line block ×7, first 2 shown]
	v_add_f64 v[36:37], v[38:39], v[36:37]
	v_mul_f64 v[87:88], v[24:25], s[28:29]
	v_fma_f64 v[97:98], v[56:57], s[6:7], v[54:55]
	v_fma_f64 v[54:55], v[56:57], s[6:7], -v[54:55]
	v_fma_f64 v[99:100], v[56:57], s[10:11], v[79:80]
	v_mul_f64 v[89:90], v[24:25], s[40:41]
	v_mul_f64 v[38:39], v[24:25], s[36:37]
	;; [unrolled: 1-line block ×3, first 2 shown]
	v_add_f64 v[36:37], v[14:15], v[36:37]
	v_mul_f64 v[93:94], v[32:33], s[40:41]
	v_fma_f64 v[79:80], v[56:57], s[10:11], -v[79:80]
	v_fma_f64 v[101:102], v[56:57], s[12:13], v[81:82]
	v_fma_f64 v[81:82], v[56:57], s[12:13], -v[81:82]
	v_fma_f64 v[103:104], v[56:57], s[16:17], v[83:84]
	;; [unrolled: 2-line block ×3, first 2 shown]
	v_add_f64 v[36:37], v[6:7], v[36:37]
	v_fma_f64 v[20:21], v[56:57], s[26:27], -v[20:21]
	v_fma_f64 v[56:57], v[58:59], s[10:11], v[85:86]
	v_fma_f64 v[85:86], v[58:59], s[10:11], -v[85:86]
	v_fma_f64 v[107:108], v[58:59], s[16:17], v[87:88]
	v_add_f64 v[97:98], v[97:98], v[30:31]
	v_add_f64 v[54:55], v[54:55], v[30:31]
	;; [unrolled: 1-line block ×4, first 2 shown]
	v_mul_f64 v[95:96], v[32:33], s[18:19]
	v_fma_f64 v[87:88], v[58:59], s[16:17], -v[87:88]
	v_fma_f64 v[109:110], v[58:59], s[26:27], v[89:90]
	v_fma_f64 v[89:90], v[58:59], s[26:27], -v[89:90]
	v_fma_f64 v[111:112], v[58:59], s[12:13], v[38:39]
	v_fma_f64 v[38:39], v[58:59], s[12:13], -v[38:39]
	v_fma_f64 v[113:114], v[58:59], s[6:7], v[24:25]
	v_add_f64 v[36:37], v[18:19], v[36:37]
	v_fma_f64 v[24:25], v[58:59], s[6:7], -v[24:25]
	v_fma_f64 v[58:59], v[52:53], s[12:13], v[91:92]
	v_fma_f64 v[91:92], v[52:53], s[12:13], -v[91:92]
	v_fma_f64 v[115:116], v[52:53], s[26:27], v[93:94]
	v_add_f64 v[79:80], v[79:80], v[30:31]
	v_add_f64 v[101:102], v[101:102], v[30:31]
	;; [unrolled: 1-line block ×17, first 2 shown]
	v_mul_f64 v[16:17], v[32:33], s[30:31]
	v_fma_f64 v[30:31], v[52:53], s[10:11], v[95:96]
	v_add_f64 v[22:23], v[22:23], v[26:27]
	v_add_f64 v[26:27], v[91:92], v[54:55]
	;; [unrolled: 1-line block ×3, first 2 shown]
	v_mul_f64 v[32:33], v[32:33], s[28:29]
	v_fma_f64 v[56:57], v[52:53], s[10:11], -v[95:96]
	v_add_f64 v[14:15], v[18:19], v[14:15]
	v_mul_f64 v[18:19], v[12:13], s[28:29]
	v_fma_f64 v[93:94], v[52:53], s[26:27], -v[93:94]
	v_add_f64 v[38:39], v[38:39], v[83:84]
	v_fma_f64 v[58:59], v[52:53], s[6:7], v[16:17]
	v_add_f64 v[30:31], v[30:31], v[79:80]
	v_fma_f64 v[16:17], v[52:53], s[6:7], -v[16:17]
	v_mul_f64 v[79:80], v[12:13], s[36:37]
	v_fma_f64 v[85:86], v[52:53], s[16:17], v[32:33]
	v_fma_f64 v[32:33], v[52:53], s[16:17], -v[32:33]
	v_add_f64 v[52:53], v[56:57], v[81:82]
	v_fma_f64 v[56:57], v[14:15], s[16:17], v[18:19]
	v_add_f64 v[36:37], v[111:112], v[36:37]
	v_fma_f64 v[18:19], v[14:15], s[16:17], -v[18:19]
	v_add_f64 v[16:17], v[16:17], v[38:39]
	v_fma_f64 v[38:39], v[14:15], s[12:13], v[79:80]
	v_add_f64 v[4:5], v[4:5], -v[8:9]
	v_add_f64 v[20:21], v[32:33], v[20:21]
	v_mul_f64 v[32:33], v[12:13], s[30:31]
	v_add_f64 v[24:25], v[56:57], v[24:25]
	v_mul_f64 v[56:57], v[12:13], s[34:35]
	v_add_f64 v[34:35], v[93:94], v[34:35]
	v_add_f64 v[36:37], v[58:59], v[36:37]
	;; [unrolled: 1-line block ×4, first 2 shown]
	v_fma_f64 v[26:27], v[14:15], s[12:13], -v[79:80]
	v_mul_f64 v[12:13], v[12:13], s[18:19]
	v_fma_f64 v[38:39], v[14:15], s[6:7], v[32:33]
	v_fma_f64 v[32:33], v[14:15], s[6:7], -v[32:33]
	v_fma_f64 v[54:55], v[14:15], s[26:27], v[56:57]
	v_add_f64 v[6:7], v[6:7], v[10:11]
	v_mul_f64 v[10:11], v[4:5], s[34:35]
	v_add_f64 v[83:84], v[113:114], v[103:104]
	v_fma_f64 v[56:57], v[14:15], s[26:27], -v[56:57]
	v_add_f64 v[26:27], v[26:27], v[34:35]
	v_fma_f64 v[34:35], v[14:15], s[10:11], v[12:13]
	v_add_f64 v[30:31], v[38:39], v[30:31]
	v_add_f64 v[32:33], v[32:33], v[52:53]
	v_fma_f64 v[12:13], v[14:15], s[10:11], -v[12:13]
	v_add_f64 v[14:15], v[54:55], v[36:37]
	v_fma_f64 v[36:37], v[6:7], s[26:27], v[10:11]
	v_mul_f64 v[38:39], v[4:5], s[24:25]
	v_mul_f64 v[52:53], v[4:5], s[28:29]
	v_add_f64 v[58:59], v[85:86], v[83:84]
	v_mul_f64 v[54:55], v[4:5], s[18:19]
	v_mul_f64 v[4:5], v[4:5], s[22:23]
	v_add_f64 v[12:13], v[12:13], v[20:21]
	v_add_f64 v[16:17], v[56:57], v[16:17]
	v_add_f64 v[24:25], v[36:37], v[24:25]
	v_fma_f64 v[20:21], v[6:7], s[6:7], v[38:39]
	v_fma_f64 v[36:37], v[6:7], s[6:7], -v[38:39]
	v_fma_f64 v[38:39], v[6:7], s[16:17], v[52:53]
	v_add_f64 v[34:35], v[34:35], v[58:59]
	v_fma_f64 v[56:57], v[6:7], s[10:11], v[54:55]
	v_fma_f64 v[58:59], v[6:7], s[12:13], v[4:5]
	v_fma_f64 v[54:55], v[6:7], s[10:11], -v[54:55]
	v_fma_f64 v[79:80], v[6:7], s[12:13], -v[4:5]
	;; [unrolled: 1-line block ×4, first 2 shown]
	v_add_f64 v[8:9], v[20:21], v[8:9]
	v_add_f64 v[4:5], v[36:37], v[26:27]
	;; [unrolled: 1-line block ×9, first 2 shown]
	s_waitcnt lgkmcnt(0)
	; wave barrier
	s_waitcnt lgkmcnt(0)
	ds_write2_b64 v73, v[22:23], v[24:25] offset1:1
	ds_write2_b64 v73, v[8:9], v[26:27] offset0:2 offset1:3
	ds_write2_b64 v73, v[14:15], v[30:31] offset0:4 offset1:5
	;; [unrolled: 1-line block ×4, first 2 shown]
	ds_write_b64 v73, v[6:7] offset:80
	s_waitcnt lgkmcnt(0)
	; wave barrier
	s_waitcnt lgkmcnt(0)
	ds_read2_b64 v[8:11], v74 offset0:11 offset1:15
	ds_read2_b64 v[16:19], v74 offset0:22 offset1:26
	;; [unrolled: 1-line block ×3, first 2 shown]
	ds_read_b64 v[30:31], v75
	ds_read_b64 v[26:27], v78
                                        ; implicit-def: $vgpr22_vgpr23
	s_and_saveexec_b64 s[6:7], s[2:3]
	s_cbranch_execz .LBB0_17
; %bb.16:
	v_add3_u32 v20, 0, v76, v77
	ds_read2_b64 v[4:7], v74 offset0:19 offset1:30
	ds_read_b64 v[20:21], v20
	ds_read_b64 v[22:23], v74 offset:328
.LBB0_17:
	s_or_b64 exec, exec, s[6:7]
	s_and_saveexec_b64 s[2:3], vcc
	s_cbranch_execz .LBB0_20
; %bb.18:
	v_mul_i32_i24_e32 v24, 3, v72
	v_mov_b32_e32 v25, 0
	v_lshlrev_b64 v[32:33], 4, v[24:25]
	v_mov_b32_e32 v24, s9
	v_mul_u32_u24_e32 v34, 3, v70
	v_add_co_u32_e32 v32, vcc, s8, v32
	v_lshlrev_b32_e32 v38, 4, v34
	v_addc_co_u32_e32 v33, vcc, v24, v33, vcc
	global_load_dwordx4 v[34:37], v38, s[8:9] offset:32
	global_load_dwordx4 v[52:55], v38, s[8:9] offset:16
	global_load_dwordx4 v[56:59], v[32:33], off offset:16
	global_load_dwordx4 v[72:75], v[32:33], off
	global_load_dwordx4 v[76:79], v[32:33], off offset:32
	global_load_dwordx4 v[80:83], v38, s[8:9]
	v_mad_u64_u32 v[32:33], s[2:3], s4, v62, 0
	s_mov_b32 s2, 0xba2e8ba3
	v_mul_lo_u32 v24, s5, v62
	v_mul_lo_u32 v63, s4, v63
	v_lshlrev_b64 v[38:39], 4, v[60:61]
	v_mul_hi_u32 v60, v70, s2
	v_mov_b32_e32 v62, s15
	v_add3_u32 v33, v33, v63, v24
	v_lshlrev_b64 v[32:33], 4, v[32:33]
	v_lshrrev_b32_e32 v24, 3, v60
	v_mul_lo_u32 v24, v24, 11
	v_add_co_u32_e32 v32, vcc, s14, v32
	v_addc_co_u32_e32 v33, vcc, v62, v33, vcc
	v_add_u32_e32 v96, 4, v70
	v_add_co_u32_e32 v32, vcc, v32, v38
	v_sub_u32_e32 v84, v70, v24
	v_mul_hi_u32 v97, v96, s2
	v_addc_co_u32_e32 v33, vcc, v33, v39, vcc
	v_mad_u64_u32 v[38:39], s[2:3], s20, v84, 0
	v_add_u32_e32 v86, 11, v84
	v_add_u32_e32 v87, 22, v84
	v_mad_u64_u32 v[60:61], s[2:3], s20, v86, 0
	v_mad_u64_u32 v[62:63], s[2:3], s20, v87, 0
	v_mov_b32_e32 v24, v39
	v_add_u32_e32 v98, 33, v84
	v_mad_u64_u32 v[84:85], s[2:3], s21, v84, v[24:25]
	v_mov_b32_e32 v24, v61
	v_mov_b32_e32 v39, v63
	v_mad_u64_u32 v[85:86], s[2:3], s21, v86, v[24:25]
	v_mad_u64_u32 v[86:87], s[2:3], s21, v87, v[39:40]
	v_mov_b32_e32 v39, v84
	v_lshlrev_b64 v[38:39], 4, v[38:39]
	v_mov_b32_e32 v61, v85
	v_add_co_u32_e32 v84, vcc, v32, v38
	v_mov_b32_e32 v63, v86
	v_addc_co_u32_e32 v85, vcc, v33, v39, vcc
	v_lshlrev_b64 v[60:61], 4, v[60:61]
	v_lshlrev_b64 v[62:63], 4, v[62:63]
	v_add_co_u32_e32 v60, vcc, v32, v60
	v_addc_co_u32_e32 v61, vcc, v33, v61, vcc
	s_waitcnt vmcnt(3)
	v_mul_f64 v[88:89], v[42:43], v[58:59]
	s_waitcnt lgkmcnt(2)
	v_mul_f64 v[86:87], v[12:13], v[36:37]
	v_mul_f64 v[38:39], v[40:41], v[54:55]
	;; [unrolled: 1-line block ×4, first 2 shown]
	s_waitcnt vmcnt(0)
	v_mul_f64 v[94:95], v[48:49], v[82:83]
	v_mul_f64 v[82:83], v[8:9], v[82:83]
	;; [unrolled: 1-line block ×7, first 2 shown]
	v_fma_f64 v[16:17], v[16:17], v[52:53], v[38:39]
	v_fma_f64 v[38:39], v[44:45], v[34:35], -v[86:87]
	v_fma_f64 v[40:41], v[40:41], v[52:53], -v[54:55]
	v_fma_f64 v[12:13], v[12:13], v[34:35], v[36:37]
	v_fma_f64 v[8:9], v[8:9], v[80:81], v[94:95]
	v_fma_f64 v[36:37], v[48:49], v[80:81], -v[82:83]
	v_fma_f64 v[18:19], v[18:19], v[56:57], v[88:89]
	v_fma_f64 v[10:11], v[10:11], v[72:73], v[74:75]
	;; [unrolled: 1-line block ×3, first 2 shown]
	v_fma_f64 v[42:43], v[42:43], v[56:57], -v[58:59]
	v_fma_f64 v[44:45], v[46:47], v[76:77], -v[92:93]
	s_waitcnt lgkmcnt(1)
	v_add_f64 v[46:47], v[30:31], -v[16:17]
	v_add_f64 v[48:49], v[68:69], -v[40:41]
	;; [unrolled: 1-line block ×4, first 2 shown]
	v_fma_f64 v[34:35], v[50:51], v[72:73], -v[90:91]
	s_waitcnt lgkmcnt(0)
	v_add_f64 v[50:51], v[26:27], -v[18:19]
	v_add_f64 v[38:39], v[10:11], -v[14:15]
	;; [unrolled: 1-line block ×3, first 2 shown]
	v_fma_f64 v[30:31], v[30:31], 2.0, -v[46:47]
	v_fma_f64 v[42:43], v[68:69], 2.0, -v[48:49]
	;; [unrolled: 1-line block ×4, first 2 shown]
	v_add_f64 v[8:9], v[48:49], -v[12:13]
	v_fma_f64 v[26:27], v[26:27], 2.0, -v[50:51]
	v_fma_f64 v[40:41], v[10:11], 2.0, -v[38:39]
	v_add_f64 v[10:11], v[46:47], v[16:17]
	v_add_f64 v[16:17], v[52:53], -v[38:39]
	v_add_f64 v[18:19], v[34:35], -v[44:45]
	;; [unrolled: 1-line block ×4, first 2 shown]
	v_fma_f64 v[38:39], v[48:49], 2.0, -v[8:9]
	v_fma_f64 v[54:55], v[66:67], 2.0, -v[52:53]
	v_add_f64 v[36:37], v[26:27], -v[40:41]
	v_fma_f64 v[40:41], v[46:47], 2.0, -v[10:11]
	v_fma_f64 v[46:47], v[52:53], 2.0, -v[16:17]
	;; [unrolled: 1-line block ×5, first 2 shown]
	v_add_co_u32_e32 v30, vcc, v32, v62
	v_addc_co_u32_e32 v31, vcc, v33, v63, vcc
	v_fma_f64 v[52:53], v[26:27], 2.0, -v[36:37]
	v_mad_u64_u32 v[26:27], s[2:3], s20, v98, 0
	global_store_dwordx4 v[84:85], v[42:45], off
	global_store_dwordx4 v[60:61], v[38:41], off
	;; [unrolled: 1-line block ×3, first 2 shown]
	v_add_f64 v[18:19], v[50:51], v[18:19]
	v_lshrrev_b32_e32 v14, 3, v97
	v_mul_lo_u32 v15, v14, 11
	v_mov_b32_e32 v12, v27
	v_mad_u64_u32 v[12:13], s[2:3], s21, v98, v[12:13]
	v_sub_u32_e32 v13, v96, v15
	v_mad_u64_u32 v[13:14], s[2:3], v14, 44, v[13:14]
	v_mov_b32_e32 v27, v12
	v_lshlrev_b64 v[14:15], 4, v[26:27]
	v_mad_u64_u32 v[26:27], s[2:3], s20, v13, 0
	v_add_f64 v[34:35], v[54:55], -v[34:35]
	v_add_co_u32_e32 v14, vcc, v32, v14
	v_mov_b32_e32 v12, v27
	v_mad_u64_u32 v[30:31], s[2:3], s21, v13, v[12:13]
	v_add_u32_e32 v12, 11, v13
	v_mad_u64_u32 v[38:39], s[2:3], s20, v12, 0
	v_addc_co_u32_e32 v15, vcc, v33, v15, vcc
	global_store_dwordx4 v[14:15], v[8:11], off
	v_fma_f64 v[48:49], v[50:51], 2.0, -v[18:19]
	v_mov_b32_e32 v10, v39
	v_mad_u64_u32 v[10:11], s[2:3], s21, v12, v[10:11]
	v_fma_f64 v[50:51], v[54:55], 2.0, -v[34:35]
	v_add_u32_e32 v12, 22, v13
	v_mov_b32_e32 v27, v30
	v_mov_b32_e32 v39, v10
	v_mad_u64_u32 v[10:11], s[2:3], s20, v12, 0
	v_lshlrev_b64 v[8:9], 4, v[26:27]
	v_add_u32_e32 v14, 33, v13
	v_add_co_u32_e32 v8, vcc, v32, v8
	v_addc_co_u32_e32 v9, vcc, v33, v9, vcc
	v_mad_u64_u32 v[11:12], s[2:3], s21, v12, v[11:12]
	global_store_dwordx4 v[8:9], v[50:53], off
	v_lshlrev_b64 v[8:9], 4, v[38:39]
	v_mad_u64_u32 v[12:13], s[2:3], s20, v14, 0
	v_add_co_u32_e32 v8, vcc, v32, v8
	v_addc_co_u32_e32 v9, vcc, v33, v9, vcc
	global_store_dwordx4 v[8:9], v[46:49], off
	v_lshlrev_b64 v[8:9], 4, v[10:11]
	v_mov_b32_e32 v10, v13
	v_mad_u64_u32 v[10:11], s[2:3], s21, v14, v[10:11]
	v_add_co_u32_e32 v8, vcc, v32, v8
	v_addc_co_u32_e32 v9, vcc, v33, v9, vcc
	v_mov_b32_e32 v13, v10
	global_store_dwordx4 v[8:9], v[34:37], off
	v_lshlrev_b64 v[8:9], 4, v[12:13]
	v_add_co_u32_e32 v8, vcc, v32, v8
	v_addc_co_u32_e32 v9, vcc, v33, v9, vcc
	global_store_dwordx4 v[8:9], v[16:19], off
	v_add_u32_e32 v8, 8, v70
	v_cmp_gt_u32_e32 vcc, 11, v8
	s_and_b64 exec, exec, vcc
	s_cbranch_execz .LBB0_20
; %bb.19:
	v_mul_i32_i24_e32 v9, 3, v71
	v_cndmask_b32_e64 v24, v9, 0, s[0:1]
	v_lshlrev_b64 v[9:10], 4, v[24:25]
	v_mov_b32_e32 v11, s9
	v_add_co_u32_e32 v17, vcc, s8, v9
	v_addc_co_u32_e32 v18, vcc, v11, v10, vcc
	global_load_dwordx4 v[9:12], v[17:18], off
	global_load_dwordx4 v[13:16], v[17:18], off offset:16
	global_load_dwordx4 v[24:27], v[17:18], off offset:32
	v_add_u32_e32 v38, 19, v70
	v_mad_u64_u32 v[17:18], s[0:1], s20, v8, 0
	v_add_u32_e32 v39, 30, v70
	v_add_u32_e32 v45, 41, v70
	v_mad_u64_u32 v[30:31], s[0:1], s20, v38, 0
	v_mad_u64_u32 v[34:35], s[0:1], s20, v39, 0
	;; [unrolled: 1-line block ×4, first 2 shown]
	v_mov_b32_e32 v8, v31
	v_mov_b32_e32 v19, v35
	;; [unrolled: 1-line block ×3, first 2 shown]
	v_mad_u64_u32 v[45:46], s[0:1], s21, v45, v[31:32]
	s_waitcnt vmcnt(2)
	v_mad_u64_u32 v[37:38], s[0:1], s21, v38, v[8:9]
	v_mad_u64_u32 v[38:39], s[0:1], s21, v39, v[19:20]
	v_mul_f64 v[39:40], v[4:5], v[11:12]
	v_mul_f64 v[11:12], v[0:1], v[11:12]
	s_waitcnt vmcnt(1)
	v_mul_f64 v[41:42], v[6:7], v[15:16]
	v_mul_f64 v[15:16], v[2:3], v[15:16]
	s_waitcnt vmcnt(0)
	v_mul_f64 v[43:44], v[22:23], v[26:27]
	v_mul_f64 v[26:27], v[64:65], v[26:27]
	v_mov_b32_e32 v31, v37
	v_mov_b32_e32 v35, v38
	v_fma_f64 v[0:1], v[0:1], v[9:10], -v[39:40]
	v_fma_f64 v[4:5], v[4:5], v[9:10], v[11:12]
	v_fma_f64 v[2:3], v[2:3], v[13:14], -v[41:42]
	v_fma_f64 v[6:7], v[6:7], v[13:14], v[15:16]
	;; [unrolled: 2-line block ×3, first 2 shown]
	v_lshlrev_b64 v[12:13], 4, v[17:18]
	v_lshlrev_b64 v[18:19], 4, v[34:35]
	v_mov_b32_e32 v37, v45
	v_lshlrev_b64 v[22:23], 4, v[36:37]
	v_add_f64 v[14:15], v[28:29], -v[2:3]
	v_add_f64 v[16:17], v[20:21], -v[6:7]
	;; [unrolled: 1-line block ×4, first 2 shown]
	v_lshlrev_b64 v[8:9], 4, v[30:31]
	v_fma_f64 v[24:25], v[28:29], 2.0, -v[14:15]
	v_fma_f64 v[20:21], v[20:21], 2.0, -v[16:17]
	;; [unrolled: 1-line block ×4, first 2 shown]
	v_add_f64 v[0:1], v[14:15], -v[6:7]
	v_add_f64 v[2:3], v[16:17], v[2:3]
	v_add_co_u32_e32 v28, vcc, v32, v12
	v_addc_co_u32_e32 v29, vcc, v33, v13, vcc
	v_add_f64 v[4:5], v[24:25], -v[10:11]
	v_add_f64 v[6:7], v[20:21], -v[26:27]
	v_add_co_u32_e32 v26, vcc, v32, v8
	v_addc_co_u32_e32 v27, vcc, v33, v9, vcc
	v_fma_f64 v[8:9], v[14:15], 2.0, -v[0:1]
	v_fma_f64 v[10:11], v[16:17], 2.0, -v[2:3]
	;; [unrolled: 1-line block ×4, first 2 shown]
	v_add_co_u32_e32 v16, vcc, v32, v18
	v_addc_co_u32_e32 v17, vcc, v33, v19, vcc
	v_add_co_u32_e32 v18, vcc, v32, v22
	v_addc_co_u32_e32 v19, vcc, v33, v23, vcc
	global_store_dwordx4 v[28:29], v[12:15], off
	global_store_dwordx4 v[26:27], v[8:11], off
	;; [unrolled: 1-line block ×4, first 2 shown]
.LBB0_20:
	s_endpgm
	.section	.rodata,"a",@progbits
	.p2align	6, 0x0
	.amdhsa_kernel fft_rtc_fwd_len44_factors_11_4_wgs_64_tpt_4_halfLds_dp_op_CI_CI_sbrr_dirReg
		.amdhsa_group_segment_fixed_size 0
		.amdhsa_private_segment_fixed_size 0
		.amdhsa_kernarg_size 104
		.amdhsa_user_sgpr_count 6
		.amdhsa_user_sgpr_private_segment_buffer 1
		.amdhsa_user_sgpr_dispatch_ptr 0
		.amdhsa_user_sgpr_queue_ptr 0
		.amdhsa_user_sgpr_kernarg_segment_ptr 1
		.amdhsa_user_sgpr_dispatch_id 0
		.amdhsa_user_sgpr_flat_scratch_init 0
		.amdhsa_user_sgpr_private_segment_size 0
		.amdhsa_uses_dynamic_stack 0
		.amdhsa_system_sgpr_private_segment_wavefront_offset 0
		.amdhsa_system_sgpr_workgroup_id_x 1
		.amdhsa_system_sgpr_workgroup_id_y 0
		.amdhsa_system_sgpr_workgroup_id_z 0
		.amdhsa_system_sgpr_workgroup_info 0
		.amdhsa_system_vgpr_workitem_id 0
		.amdhsa_next_free_vgpr 117
		.amdhsa_next_free_sgpr 44
		.amdhsa_reserve_vcc 1
		.amdhsa_reserve_flat_scratch 0
		.amdhsa_float_round_mode_32 0
		.amdhsa_float_round_mode_16_64 0
		.amdhsa_float_denorm_mode_32 3
		.amdhsa_float_denorm_mode_16_64 3
		.amdhsa_dx10_clamp 1
		.amdhsa_ieee_mode 1
		.amdhsa_fp16_overflow 0
		.amdhsa_exception_fp_ieee_invalid_op 0
		.amdhsa_exception_fp_denorm_src 0
		.amdhsa_exception_fp_ieee_div_zero 0
		.amdhsa_exception_fp_ieee_overflow 0
		.amdhsa_exception_fp_ieee_underflow 0
		.amdhsa_exception_fp_ieee_inexact 0
		.amdhsa_exception_int_div_zero 0
	.end_amdhsa_kernel
	.text
.Lfunc_end0:
	.size	fft_rtc_fwd_len44_factors_11_4_wgs_64_tpt_4_halfLds_dp_op_CI_CI_sbrr_dirReg, .Lfunc_end0-fft_rtc_fwd_len44_factors_11_4_wgs_64_tpt_4_halfLds_dp_op_CI_CI_sbrr_dirReg
                                        ; -- End function
	.section	.AMDGPU.csdata,"",@progbits
; Kernel info:
; codeLenInByte = 6444
; NumSgprs: 48
; NumVgprs: 117
; ScratchSize: 0
; MemoryBound: 1
; FloatMode: 240
; IeeeMode: 1
; LDSByteSize: 0 bytes/workgroup (compile time only)
; SGPRBlocks: 5
; VGPRBlocks: 29
; NumSGPRsForWavesPerEU: 48
; NumVGPRsForWavesPerEU: 117
; Occupancy: 2
; WaveLimiterHint : 1
; COMPUTE_PGM_RSRC2:SCRATCH_EN: 0
; COMPUTE_PGM_RSRC2:USER_SGPR: 6
; COMPUTE_PGM_RSRC2:TRAP_HANDLER: 0
; COMPUTE_PGM_RSRC2:TGID_X_EN: 1
; COMPUTE_PGM_RSRC2:TGID_Y_EN: 0
; COMPUTE_PGM_RSRC2:TGID_Z_EN: 0
; COMPUTE_PGM_RSRC2:TIDIG_COMP_CNT: 0
	.type	__hip_cuid_68a76452854f5c39,@object ; @__hip_cuid_68a76452854f5c39
	.section	.bss,"aw",@nobits
	.globl	__hip_cuid_68a76452854f5c39
__hip_cuid_68a76452854f5c39:
	.byte	0                               ; 0x0
	.size	__hip_cuid_68a76452854f5c39, 1

	.ident	"AMD clang version 19.0.0git (https://github.com/RadeonOpenCompute/llvm-project roc-6.4.0 25133 c7fe45cf4b819c5991fe208aaa96edf142730f1d)"
	.section	".note.GNU-stack","",@progbits
	.addrsig
	.addrsig_sym __hip_cuid_68a76452854f5c39
	.amdgpu_metadata
---
amdhsa.kernels:
  - .args:
      - .actual_access:  read_only
        .address_space:  global
        .offset:         0
        .size:           8
        .value_kind:     global_buffer
      - .offset:         8
        .size:           8
        .value_kind:     by_value
      - .actual_access:  read_only
        .address_space:  global
        .offset:         16
        .size:           8
        .value_kind:     global_buffer
      - .actual_access:  read_only
        .address_space:  global
        .offset:         24
        .size:           8
        .value_kind:     global_buffer
      - .actual_access:  read_only
        .address_space:  global
        .offset:         32
        .size:           8
        .value_kind:     global_buffer
      - .offset:         40
        .size:           8
        .value_kind:     by_value
      - .actual_access:  read_only
        .address_space:  global
        .offset:         48
        .size:           8
        .value_kind:     global_buffer
      - .actual_access:  read_only
        .address_space:  global
        .offset:         56
        .size:           8
        .value_kind:     global_buffer
      - .offset:         64
        .size:           4
        .value_kind:     by_value
      - .actual_access:  read_only
        .address_space:  global
        .offset:         72
        .size:           8
        .value_kind:     global_buffer
      - .actual_access:  read_only
        .address_space:  global
        .offset:         80
        .size:           8
        .value_kind:     global_buffer
      - .actual_access:  read_only
        .address_space:  global
        .offset:         88
        .size:           8
        .value_kind:     global_buffer
      - .actual_access:  write_only
        .address_space:  global
        .offset:         96
        .size:           8
        .value_kind:     global_buffer
    .group_segment_fixed_size: 0
    .kernarg_segment_align: 8
    .kernarg_segment_size: 104
    .language:       OpenCL C
    .language_version:
      - 2
      - 0
    .max_flat_workgroup_size: 64
    .name:           fft_rtc_fwd_len44_factors_11_4_wgs_64_tpt_4_halfLds_dp_op_CI_CI_sbrr_dirReg
    .private_segment_fixed_size: 0
    .sgpr_count:     48
    .sgpr_spill_count: 0
    .symbol:         fft_rtc_fwd_len44_factors_11_4_wgs_64_tpt_4_halfLds_dp_op_CI_CI_sbrr_dirReg.kd
    .uniform_work_group_size: 1
    .uses_dynamic_stack: false
    .vgpr_count:     117
    .vgpr_spill_count: 0
    .wavefront_size: 64
amdhsa.target:   amdgcn-amd-amdhsa--gfx906
amdhsa.version:
  - 1
  - 2
...

	.end_amdgpu_metadata
